;; amdgpu-corpus repo=ROCm/rocFFT kind=compiled arch=gfx1030 opt=O3
	.text
	.amdgcn_target "amdgcn-amd-amdhsa--gfx1030"
	.amdhsa_code_object_version 6
	.protected	fft_rtc_back_len170_factors_17_10_wgs_119_tpt_17_halfLds_sp_ip_CI_unitstride_sbrr_dirReg ; -- Begin function fft_rtc_back_len170_factors_17_10_wgs_119_tpt_17_halfLds_sp_ip_CI_unitstride_sbrr_dirReg
	.globl	fft_rtc_back_len170_factors_17_10_wgs_119_tpt_17_halfLds_sp_ip_CI_unitstride_sbrr_dirReg
	.p2align	8
	.type	fft_rtc_back_len170_factors_17_10_wgs_119_tpt_17_halfLds_sp_ip_CI_unitstride_sbrr_dirReg,@function
fft_rtc_back_len170_factors_17_10_wgs_119_tpt_17_halfLds_sp_ip_CI_unitstride_sbrr_dirReg: ; @fft_rtc_back_len170_factors_17_10_wgs_119_tpt_17_halfLds_sp_ip_CI_unitstride_sbrr_dirReg
; %bb.0:
	s_load_dwordx4 s[8:11], s[4:5], 0x0
	v_mul_u32_u24_e32 v1, 0xf10, v0
	s_clause 0x1
	s_load_dwordx2 s[2:3], s[4:5], 0x50
	s_load_dwordx2 s[12:13], s[4:5], 0x18
	v_mov_b32_e32 v3, 0
	v_lshrrev_b32_e32 v1, 16, v1
	v_mad_u64_u32 v[39:40], null, s6, 7, v[1:2]
	v_mov_b32_e32 v40, v3
	v_mov_b32_e32 v1, 0
	;; [unrolled: 1-line block ×4, first 2 shown]
	s_waitcnt lgkmcnt(0)
	v_cmp_lt_u64_e64 s0, s[10:11], 2
	v_mov_b32_e32 v8, v40
	s_and_b32 vcc_lo, exec_lo, s0
	s_cbranch_vccnz .LBB0_8
; %bb.1:
	s_load_dwordx2 s[0:1], s[4:5], 0x10
	v_mov_b32_e32 v1, 0
	v_mov_b32_e32 v5, v39
	s_add_u32 s6, s12, 8
	v_mov_b32_e32 v2, 0
	v_mov_b32_e32 v6, v40
	s_addc_u32 s7, s13, 0
	s_mov_b64 s[16:17], 1
	s_waitcnt lgkmcnt(0)
	s_add_u32 s14, s0, 8
	s_addc_u32 s15, s1, 0
.LBB0_2:                                ; =>This Inner Loop Header: Depth=1
	s_load_dwordx2 s[18:19], s[14:15], 0x0
                                        ; implicit-def: $vgpr7_vgpr8
	s_mov_b32 s0, exec_lo
	s_waitcnt lgkmcnt(0)
	v_or_b32_e32 v4, s19, v6
	v_cmpx_ne_u64_e32 0, v[3:4]
	s_xor_b32 s1, exec_lo, s0
	s_cbranch_execz .LBB0_4
; %bb.3:                                ;   in Loop: Header=BB0_2 Depth=1
	v_cvt_f32_u32_e32 v4, s18
	v_cvt_f32_u32_e32 v7, s19
	s_sub_u32 s0, 0, s18
	s_subb_u32 s20, 0, s19
	v_fmac_f32_e32 v4, 0x4f800000, v7
	v_rcp_f32_e32 v4, v4
	v_mul_f32_e32 v4, 0x5f7ffffc, v4
	v_mul_f32_e32 v7, 0x2f800000, v4
	v_trunc_f32_e32 v7, v7
	v_fmac_f32_e32 v4, 0xcf800000, v7
	v_cvt_u32_f32_e32 v7, v7
	v_cvt_u32_f32_e32 v4, v4
	v_mul_lo_u32 v8, s0, v7
	v_mul_hi_u32 v9, s0, v4
	v_mul_lo_u32 v10, s20, v4
	v_add_nc_u32_e32 v8, v9, v8
	v_mul_lo_u32 v9, s0, v4
	v_add_nc_u32_e32 v8, v8, v10
	v_mul_hi_u32 v10, v4, v9
	v_mul_lo_u32 v11, v4, v8
	v_mul_hi_u32 v12, v4, v8
	v_mul_hi_u32 v13, v7, v9
	v_mul_lo_u32 v9, v7, v9
	v_mul_hi_u32 v14, v7, v8
	v_mul_lo_u32 v8, v7, v8
	v_add_co_u32 v10, vcc_lo, v10, v11
	v_add_co_ci_u32_e32 v11, vcc_lo, 0, v12, vcc_lo
	v_add_co_u32 v9, vcc_lo, v10, v9
	v_add_co_ci_u32_e32 v9, vcc_lo, v11, v13, vcc_lo
	v_add_co_ci_u32_e32 v10, vcc_lo, 0, v14, vcc_lo
	v_add_co_u32 v8, vcc_lo, v9, v8
	v_add_co_ci_u32_e32 v9, vcc_lo, 0, v10, vcc_lo
	v_add_co_u32 v4, vcc_lo, v4, v8
	v_add_co_ci_u32_e32 v7, vcc_lo, v7, v9, vcc_lo
	v_mul_hi_u32 v8, s0, v4
	v_mul_lo_u32 v10, s20, v4
	v_mul_lo_u32 v9, s0, v7
	v_add_nc_u32_e32 v8, v8, v9
	v_mul_lo_u32 v9, s0, v4
	v_add_nc_u32_e32 v8, v8, v10
	v_mul_hi_u32 v10, v4, v9
	v_mul_lo_u32 v11, v4, v8
	v_mul_hi_u32 v12, v4, v8
	v_mul_hi_u32 v13, v7, v9
	v_mul_lo_u32 v9, v7, v9
	v_mul_hi_u32 v14, v7, v8
	v_mul_lo_u32 v8, v7, v8
	v_add_co_u32 v10, vcc_lo, v10, v11
	v_add_co_ci_u32_e32 v11, vcc_lo, 0, v12, vcc_lo
	v_add_co_u32 v9, vcc_lo, v10, v9
	v_add_co_ci_u32_e32 v9, vcc_lo, v11, v13, vcc_lo
	v_add_co_ci_u32_e32 v10, vcc_lo, 0, v14, vcc_lo
	v_add_co_u32 v8, vcc_lo, v9, v8
	v_add_co_ci_u32_e32 v9, vcc_lo, 0, v10, vcc_lo
	v_add_co_u32 v4, vcc_lo, v4, v8
	v_add_co_ci_u32_e32 v11, vcc_lo, v7, v9, vcc_lo
	v_mul_hi_u32 v13, v5, v4
	v_mad_u64_u32 v[9:10], null, v6, v4, 0
	v_mad_u64_u32 v[7:8], null, v5, v11, 0
	v_mad_u64_u32 v[11:12], null, v6, v11, 0
	v_add_co_u32 v4, vcc_lo, v13, v7
	v_add_co_ci_u32_e32 v7, vcc_lo, 0, v8, vcc_lo
	v_add_co_u32 v4, vcc_lo, v4, v9
	v_add_co_ci_u32_e32 v4, vcc_lo, v7, v10, vcc_lo
	v_add_co_ci_u32_e32 v7, vcc_lo, 0, v12, vcc_lo
	v_add_co_u32 v4, vcc_lo, v4, v11
	v_add_co_ci_u32_e32 v9, vcc_lo, 0, v7, vcc_lo
	v_mul_lo_u32 v10, s19, v4
	v_mad_u64_u32 v[7:8], null, s18, v4, 0
	v_mul_lo_u32 v11, s18, v9
	v_sub_co_u32 v7, vcc_lo, v5, v7
	v_add3_u32 v8, v8, v11, v10
	v_sub_nc_u32_e32 v10, v6, v8
	v_subrev_co_ci_u32_e64 v10, s0, s19, v10, vcc_lo
	v_add_co_u32 v11, s0, v4, 2
	v_add_co_ci_u32_e64 v12, s0, 0, v9, s0
	v_sub_co_u32 v13, s0, v7, s18
	v_sub_co_ci_u32_e32 v8, vcc_lo, v6, v8, vcc_lo
	v_subrev_co_ci_u32_e64 v10, s0, 0, v10, s0
	v_cmp_le_u32_e32 vcc_lo, s18, v13
	v_cmp_eq_u32_e64 s0, s19, v8
	v_cndmask_b32_e64 v13, 0, -1, vcc_lo
	v_cmp_le_u32_e32 vcc_lo, s19, v10
	v_cndmask_b32_e64 v14, 0, -1, vcc_lo
	v_cmp_le_u32_e32 vcc_lo, s18, v7
	;; [unrolled: 2-line block ×3, first 2 shown]
	v_cndmask_b32_e64 v15, 0, -1, vcc_lo
	v_cmp_eq_u32_e32 vcc_lo, s19, v10
	v_cndmask_b32_e64 v7, v15, v7, s0
	v_cndmask_b32_e32 v10, v14, v13, vcc_lo
	v_add_co_u32 v13, vcc_lo, v4, 1
	v_add_co_ci_u32_e32 v14, vcc_lo, 0, v9, vcc_lo
	v_cmp_ne_u32_e32 vcc_lo, 0, v10
	v_cndmask_b32_e32 v8, v14, v12, vcc_lo
	v_cndmask_b32_e32 v10, v13, v11, vcc_lo
	v_cmp_ne_u32_e32 vcc_lo, 0, v7
	v_cndmask_b32_e32 v8, v9, v8, vcc_lo
	v_cndmask_b32_e32 v7, v4, v10, vcc_lo
.LBB0_4:                                ;   in Loop: Header=BB0_2 Depth=1
	s_andn2_saveexec_b32 s0, s1
	s_cbranch_execz .LBB0_6
; %bb.5:                                ;   in Loop: Header=BB0_2 Depth=1
	v_cvt_f32_u32_e32 v4, s18
	s_sub_i32 s1, 0, s18
	v_rcp_iflag_f32_e32 v4, v4
	v_mul_f32_e32 v4, 0x4f7ffffe, v4
	v_cvt_u32_f32_e32 v4, v4
	v_mul_lo_u32 v7, s1, v4
	v_mul_hi_u32 v7, v4, v7
	v_add_nc_u32_e32 v4, v4, v7
	v_mul_hi_u32 v4, v5, v4
	v_mul_lo_u32 v7, v4, s18
	v_add_nc_u32_e32 v8, 1, v4
	v_sub_nc_u32_e32 v7, v5, v7
	v_subrev_nc_u32_e32 v9, s18, v7
	v_cmp_le_u32_e32 vcc_lo, s18, v7
	v_cndmask_b32_e32 v7, v7, v9, vcc_lo
	v_cndmask_b32_e32 v4, v4, v8, vcc_lo
	v_cmp_le_u32_e32 vcc_lo, s18, v7
	v_add_nc_u32_e32 v8, 1, v4
	v_cndmask_b32_e32 v7, v4, v8, vcc_lo
	v_mov_b32_e32 v8, v3
.LBB0_6:                                ;   in Loop: Header=BB0_2 Depth=1
	s_or_b32 exec_lo, exec_lo, s0
	s_load_dwordx2 s[0:1], s[6:7], 0x0
	v_mul_lo_u32 v4, v8, s18
	v_mul_lo_u32 v11, v7, s19
	v_mad_u64_u32 v[9:10], null, v7, s18, 0
	s_add_u32 s16, s16, 1
	s_addc_u32 s17, s17, 0
	s_add_u32 s6, s6, 8
	s_addc_u32 s7, s7, 0
	;; [unrolled: 2-line block ×3, first 2 shown]
	v_add3_u32 v4, v10, v11, v4
	v_sub_co_u32 v5, vcc_lo, v5, v9
	v_sub_co_ci_u32_e32 v4, vcc_lo, v6, v4, vcc_lo
	s_waitcnt lgkmcnt(0)
	v_mul_lo_u32 v6, s1, v5
	v_mul_lo_u32 v4, s0, v4
	v_mad_u64_u32 v[1:2], null, s0, v5, v[1:2]
	v_cmp_ge_u64_e64 s0, s[16:17], s[10:11]
	s_and_b32 vcc_lo, exec_lo, s0
	v_add3_u32 v2, v6, v2, v4
	s_cbranch_vccnz .LBB0_8
; %bb.7:                                ;   in Loop: Header=BB0_2 Depth=1
	v_mov_b32_e32 v5, v7
	v_mov_b32_e32 v6, v8
	s_branch .LBB0_2
.LBB0_8:
	s_lshl_b64 s[0:1], s[10:11], 3
	v_mul_hi_u32 v3, 0xf0f0f10, v0
	s_add_u32 s0, s12, s0
	s_addc_u32 s1, s13, s1
	v_mov_b32_e32 v26, 0
	s_load_dwordx2 s[0:1], s[0:1], 0x0
	s_load_dwordx2 s[4:5], s[4:5], 0x20
	v_mov_b32_e32 v25, 0
                                        ; implicit-def: $vgpr38
                                        ; implicit-def: $vgpr36
                                        ; implicit-def: $vgpr28
                                        ; implicit-def: $vgpr22
                                        ; implicit-def: $vgpr18
                                        ; implicit-def: $vgpr14
                                        ; implicit-def: $vgpr10
                                        ; implicit-def: $vgpr32
                                        ; implicit-def: $vgpr34
                                        ; implicit-def: $vgpr30
                                        ; implicit-def: $vgpr24
                                        ; implicit-def: $vgpr20
                                        ; implicit-def: $vgpr16
                                        ; implicit-def: $vgpr12
	v_mul_u32_u24_e32 v4, 17, v3
	v_mov_b32_e32 v3, 0
	v_sub_nc_u32_e32 v4, v0, v4
	s_waitcnt lgkmcnt(0)
	v_mul_lo_u32 v5, s0, v8
	v_mul_lo_u32 v6, s1, v7
	v_mad_u64_u32 v[1:2], null, s0, v7, v[1:2]
	v_cmp_gt_u64_e32 vcc_lo, s[4:5], v[7:8]
                                        ; implicit-def: $vgpr8
	v_add3_u32 v2, v6, v2, v5
                                        ; implicit-def: $vgpr6
	s_and_saveexec_b32 s1, vcc_lo
	s_cbranch_execz .LBB0_12
; %bb.9:
	v_mov_b32_e32 v25, 0
	v_mov_b32_e32 v26, 0
	s_mov_b32 s4, exec_lo
                                        ; implicit-def: $vgpr7
                                        ; implicit-def: $vgpr11
                                        ; implicit-def: $vgpr15
                                        ; implicit-def: $vgpr19
                                        ; implicit-def: $vgpr23
                                        ; implicit-def: $vgpr29
                                        ; implicit-def: $vgpr33
                                        ; implicit-def: $vgpr31
                                        ; implicit-def: $vgpr5
                                        ; implicit-def: $vgpr9
                                        ; implicit-def: $vgpr13
                                        ; implicit-def: $vgpr17
                                        ; implicit-def: $vgpr21
                                        ; implicit-def: $vgpr27
                                        ; implicit-def: $vgpr35
                                        ; implicit-def: $vgpr37
	v_cmpx_gt_u32_e32 10, v4
; %bb.10:
	v_mov_b32_e32 v5, 0
	v_lshlrev_b64 v[6:7], 3, v[1:2]
	v_lshlrev_b64 v[8:9], 3, v[4:5]
	v_add_co_u32 v0, s0, s2, v6
	v_add_co_ci_u32_e64 v3, s0, s3, v7, s0
	v_add_co_u32 v31, s0, v0, v8
	v_add_co_ci_u32_e64 v32, s0, v3, v9, s0
	s_clause 0x10
	global_load_dwordx2 v[25:26], v[31:32], off
	global_load_dwordx2 v[37:38], v[31:32], off offset:80
	global_load_dwordx2 v[35:36], v[31:32], off offset:160
	;; [unrolled: 1-line block ×16, first 2 shown]
; %bb.11:
	s_or_b32 exec_lo, exec_lo, s4
	v_mov_b32_e32 v3, v4
.LBB0_12:
	s_or_b32 exec_lo, exec_lo, s1
	v_mul_hi_u32 v0, 0x24924925, v39
	v_cmp_gt_u32_e64 s0, 10, v4
	v_sub_nc_u32_e32 v40, v39, v0
	v_lshrrev_b32_e32 v40, 1, v40
	v_add_nc_u32_e32 v0, v40, v0
	v_lshrrev_b32_e32 v0, 2, v0
	v_mul_lo_u32 v0, v0, 7
	v_sub_nc_u32_e32 v0, v39, v0
	v_mul_u32_u24_e32 v0, 0xaa, v0
	v_lshlrev_b32_e32 v0, 2, v0
	s_and_saveexec_b32 s1, s0
	s_cbranch_execz .LBB0_14
; %bb.13:
	s_waitcnt vmcnt(0)
	v_add_f32_e32 v61, v37, v31
	v_sub_f32_e32 v57, v38, v32
	v_add_f32_e32 v62, v35, v33
	v_sub_f32_e32 v58, v36, v34
	v_add_f32_e32 v59, v27, v29
	v_mul_f32_e32 v39, 0xbf7ba420, v61
	v_sub_f32_e32 v54, v28, v30
	v_mul_f32_e32 v40, 0x3f6eb680, v62
	v_add_f32_e32 v56, v21, v23
	v_mul_f32_e32 v42, 0xbf59a7d5, v59
	v_fmamk_f32 v41, v57, 0x3e3c28d5, v39
	v_fmac_f32_e32 v39, 0xbe3c28d5, v57
	v_fmamk_f32 v43, v58, 0xbeb8f4ab, v40
	v_fmac_f32_e32 v40, 0x3eb8f4ab, v58
	v_sub_f32_e32 v53, v22, v24
	v_add_f32_e32 v55, v17, v19
	v_add_f32_e32 v39, v25, v39
	;; [unrolled: 1-line block ×3, first 2 shown]
	v_mul_f32_e32 v44, 0x3f3d2fb0, v56
	v_fmamk_f32 v45, v54, 0x3f06c442, v42
	v_fmac_f32_e32 v42, 0xbf06c442, v54
	v_add_f32_e32 v39, v39, v40
	v_sub_f32_e32 v52, v18, v20
	v_add_f32_e32 v41, v41, v43
	v_mul_f32_e32 v43, 0xbf1a4643, v55
	v_fmamk_f32 v46, v53, 0xbf2c7751, v44
	v_fmac_f32_e32 v44, 0x3f2c7751, v53
	v_add_f32_e32 v39, v39, v42
	v_add_f32_e32 v41, v41, v45
	;; [unrolled: 1-line block ×3, first 2 shown]
	v_fmamk_f32 v40, v52, 0x3f4c4adb, v43
	v_fmac_f32_e32 v43, 0xbf4c4adb, v52
	v_add_f32_e32 v39, v39, v44
	v_add_f32_e32 v41, v41, v46
	v_sub_f32_e32 v60, v14, v16
	v_mul_f32_e32 v42, 0x3ee437d1, v63
	v_add_f32_e32 v64, v9, v11
	v_add_f32_e32 v39, v39, v43
	v_mul_f32_e32 v43, 0xbf59a7d5, v61
	v_add_f32_e32 v40, v41, v40
	v_fmamk_f32 v41, v60, 0xbf65296c, v42
	v_mul_f32_e32 v44, 0xbe8c1d8e, v64
	v_sub_f32_e32 v49, v10, v12
	v_fmac_f32_e32 v42, 0x3f65296c, v60
	v_fmamk_f32 v46, v57, 0x3f06c442, v43
	v_mul_f32_e32 v47, 0x3ee437d1, v62
	v_fmac_f32_e32 v43, 0xbf06c442, v57
	v_add_f32_e32 v50, v5, v7
	v_add_f32_e32 v40, v40, v41
	v_fmamk_f32 v41, v49, 0x3f763a35, v44
	v_add_f32_e32 v39, v39, v42
	v_add_f32_e32 v42, v25, v46
	v_fmamk_f32 v46, v58, 0xbf65296c, v47
	v_mul_f32_e32 v48, 0x3dbcf732, v59
	v_add_f32_e32 v43, v25, v43
	v_fmac_f32_e32 v47, 0x3f65296c, v58
	v_mul_f32_e32 v45, 0x3dbcf732, v50
	v_sub_f32_e32 v51, v6, v8
	v_fmac_f32_e32 v44, 0xbf763a35, v49
	v_add_f32_e32 v40, v40, v41
	v_add_f32_e32 v41, v42, v46
	v_fmamk_f32 v42, v54, 0x3f7ee86f, v48
	v_add_f32_e32 v43, v43, v47
	v_mul_f32_e32 v46, 0xbf1a4643, v56
	v_fmac_f32_e32 v48, 0xbf7ee86f, v54
	v_fmamk_f32 v47, v51, 0xbf7ee86f, v45
	v_add_f32_e32 v44, v39, v44
	v_add_f32_e32 v41, v41, v42
	v_fmamk_f32 v42, v53, 0xbf4c4adb, v46
	v_add_f32_e32 v43, v43, v48
	v_mul_f32_e32 v48, 0x3f6eb680, v55
	v_fmac_f32_e32 v46, 0x3f4c4adb, v53
	v_fmac_f32_e32 v45, 0x3f7ee86f, v51
	v_add_f32_e32 v39, v40, v47
	v_add_f32_e32 v41, v41, v42
	v_fmamk_f32 v42, v52, 0x3eb8f4ab, v48
	v_add_f32_e32 v43, v43, v46
	v_fmac_f32_e32 v48, 0xbeb8f4ab, v52
	v_add_f32_e32 v40, v44, v45
	v_mul_f32_e32 v44, 0xbf1a4643, v61
	v_mul_f32_e32 v46, 0xbf7ba420, v63
	v_add_f32_e32 v41, v41, v42
	v_add_f32_e32 v43, v43, v48
	v_mul_f32_e32 v48, 0xbe8c1d8e, v62
	v_fmamk_f32 v47, v57, 0x3f4c4adb, v44
	v_fmamk_f32 v42, v60, 0x3e3c28d5, v46
	v_mul_f32_e32 v45, 0x3f3d2fb0, v64
	v_fmac_f32_e32 v46, 0xbe3c28d5, v60
	v_fmamk_f32 v65, v58, 0xbf763a35, v48
	v_add_f32_e32 v47, v25, v47
	v_mul_f32_e32 v66, 0x3f6eb680, v59
	v_add_f32_e32 v41, v41, v42
	v_fmamk_f32 v42, v49, 0xbf2c7751, v45
	v_add_f32_e32 v43, v43, v46
	v_fmac_f32_e32 v45, 0x3f2c7751, v49
	v_add_f32_e32 v47, v47, v65
	v_fmamk_f32 v65, v54, 0x3eb8f4ab, v66
	v_mul_f32_e32 v67, 0xbf59a7d5, v56
	v_mul_f32_e32 v46, 0xbe8c1d8e, v50
	v_add_f32_e32 v43, v43, v45
	v_add_f32_e32 v41, v41, v42
	;; [unrolled: 1-line block ×3, first 2 shown]
	v_fmamk_f32 v47, v53, 0x3f06c442, v67
	v_mul_f32_e32 v65, 0x3dbcf732, v55
	v_fmamk_f32 v42, v51, 0x3f763a35, v46
	v_fmac_f32_e32 v46, 0xbf763a35, v51
	v_fmac_f32_e32 v44, 0xbf4c4adb, v57
	v_add_f32_e32 v45, v45, v47
	v_fmamk_f32 v47, v52, 0xbf7ee86f, v65
	v_mul_f32_e32 v68, 0x3f3d2fb0, v63
	v_add_f32_e32 v41, v41, v42
	v_add_f32_e32 v42, v43, v46
	;; [unrolled: 1-line block ×3, first 2 shown]
	v_fmac_f32_e32 v48, 0x3f763a35, v58
	v_add_f32_e32 v44, v45, v47
	v_fmamk_f32 v45, v60, 0x3f2c7751, v68
	v_mul_f32_e32 v46, 0xbe8c1d8e, v61
	v_fmac_f32_e32 v66, 0xbeb8f4ab, v54
	v_add_f32_e32 v43, v43, v48
	v_mul_f32_e32 v48, 0xbf59a7d5, v62
	v_add_f32_e32 v44, v44, v45
	v_fmamk_f32 v45, v57, 0x3f763a35, v46
	v_mul_f32_e32 v47, 0xbf7ba420, v64
	v_add_f32_e32 v43, v43, v66
	v_fmac_f32_e32 v67, 0xbf06c442, v53
	v_fmamk_f32 v66, v58, 0xbf06c442, v48
	v_add_f32_e32 v45, v25, v45
	v_mul_f32_e32 v70, 0x3f3d2fb0, v59
	v_fmamk_f32 v69, v49, 0x3e3c28d5, v47
	v_add_f32_e32 v43, v43, v67
	v_fmac_f32_e32 v65, 0x3f7ee86f, v52
	v_add_f32_e32 v45, v45, v66
	v_fmamk_f32 v66, v54, 0xbf2c7751, v70
	v_mul_f32_e32 v67, 0x3ee437d1, v56
	v_add_f32_e32 v44, v44, v69
	v_mul_f32_e32 v69, 0x3ee437d1, v50
	v_add_f32_e32 v43, v43, v65
	v_fmac_f32_e32 v68, 0xbf2c7751, v60
	v_add_f32_e32 v45, v45, v66
	v_fmamk_f32 v65, v53, 0x3f65296c, v67
	v_mul_f32_e32 v66, 0xbf7ba420, v55
	v_fmamk_f32 v71, v51, 0xbf65296c, v69
	v_add_f32_e32 v68, v43, v68
	v_fmac_f32_e32 v47, 0xbe3c28d5, v49
	v_add_f32_e32 v45, v45, v65
	v_fmamk_f32 v65, v52, 0x3e3c28d5, v66
	v_mul_f32_e32 v72, 0x3dbcf732, v63
	v_add_f32_e32 v43, v44, v71
	v_add_f32_e32 v44, v68, v47
	v_fmac_f32_e32 v46, 0xbf763a35, v57
	v_add_f32_e32 v45, v45, v65
	v_fmamk_f32 v47, v60, 0xbf7ee86f, v72
	v_mul_f32_e32 v65, 0x3f6eb680, v64
	v_fmac_f32_e32 v69, 0x3f65296c, v51
	v_add_f32_e32 v46, v25, v46
	v_fmac_f32_e32 v48, 0x3f06c442, v58
	v_add_f32_e32 v45, v45, v47
	v_fmamk_f32 v47, v49, 0x3eb8f4ab, v65
	v_mul_f32_e32 v68, 0x3dbcf732, v61
	v_add_f32_e32 v44, v44, v69
	v_add_f32_e32 v46, v46, v48
	v_fmac_f32_e32 v70, 0x3f2c7751, v54
	v_add_f32_e32 v45, v45, v47
	v_mul_f32_e32 v47, 0xbf1a4643, v50
	v_fmamk_f32 v48, v57, 0x3f7ee86f, v68
	v_mul_f32_e32 v69, 0xbf7ba420, v62
	v_add_f32_e32 v46, v46, v70
	v_fmac_f32_e32 v67, 0xbf65296c, v53
	v_fmamk_f32 v70, v51, 0x3f4c4adb, v47
	v_add_f32_e32 v48, v25, v48
	v_fmamk_f32 v71, v58, 0x3e3c28d5, v69
	v_mul_f32_e32 v73, 0xbe8c1d8e, v59
	v_add_f32_e32 v46, v46, v67
	v_fmac_f32_e32 v66, 0xbe3c28d5, v52
	v_add_f32_e32 v45, v45, v70
	v_add_f32_e32 v48, v48, v71
	v_fmamk_f32 v67, v54, 0xbf763a35, v73
	v_mul_f32_e32 v70, 0x3f6eb680, v56
	v_add_f32_e32 v46, v46, v66
	v_fmac_f32_e32 v68, 0xbf7ee86f, v57
	v_fmac_f32_e32 v72, 0x3f7ee86f, v60
	v_add_f32_e32 v48, v48, v67
	v_fmamk_f32 v66, v53, 0xbeb8f4ab, v70
	v_mul_f32_e32 v67, 0x3ee437d1, v55
	v_add_f32_e32 v68, v25, v68
	v_fmac_f32_e32 v69, 0xbe3c28d5, v58
	v_mul_f32_e32 v71, 0xbf59a7d5, v63
	v_add_f32_e32 v48, v48, v66
	v_fmamk_f32 v66, v52, 0x3f65296c, v67
	v_add_f32_e32 v46, v46, v72
	v_add_f32_e32 v68, v68, v69
	v_fmac_f32_e32 v73, 0x3f763a35, v54
	v_fmac_f32_e32 v65, 0xbeb8f4ab, v49
	v_add_f32_e32 v48, v48, v66
	v_fmamk_f32 v66, v60, 0x3f06c442, v71
	v_mul_f32_e32 v69, 0xbf1a4643, v64
	v_add_f32_e32 v68, v68, v73
	v_fmac_f32_e32 v70, 0x3eb8f4ab, v53
	v_add_f32_e32 v46, v46, v65
	v_add_f32_e32 v48, v48, v66
	v_fmamk_f32 v65, v49, 0xbf4c4adb, v69
	v_mul_f32_e32 v66, 0x3f3d2fb0, v50
	v_add_f32_e32 v68, v68, v70
	v_fmac_f32_e32 v67, 0xbf65296c, v52
	v_fmac_f32_e32 v47, 0xbf4c4adb, v51
	v_add_f32_e32 v48, v48, v65
	v_mul_f32_e32 v65, 0x3ee437d1, v61
	v_fmamk_f32 v70, v51, 0xbf2c7751, v66
	v_add_f32_e32 v67, v68, v67
	v_fmac_f32_e32 v71, 0xbf06c442, v60
	v_mul_f32_e32 v72, 0xbf1a4643, v62
	v_fmamk_f32 v68, v57, 0x3f65296c, v65
	v_add_f32_e32 v46, v46, v47
	v_add_f32_e32 v47, v48, v70
	;; [unrolled: 1-line block ×3, first 2 shown]
	v_fmac_f32_e32 v65, 0xbf65296c, v57
	v_add_f32_e32 v67, v25, v68
	v_fmamk_f32 v68, v58, 0x3f4c4adb, v72
	v_mul_f32_e32 v70, 0xbf7ba420, v59
	v_fmac_f32_e32 v69, 0x3f4c4adb, v49
	v_add_f32_e32 v65, v25, v65
	v_fmac_f32_e32 v72, 0xbf4c4adb, v58
	v_add_f32_e32 v67, v67, v68
	v_fmamk_f32 v68, v54, 0xbe3c28d5, v70
	v_mul_f32_e32 v71, 0xbe8c1d8e, v56
	v_add_f32_e32 v48, v48, v69
	v_add_f32_e32 v65, v65, v72
	v_fmac_f32_e32 v70, 0x3e3c28d5, v54
	v_add_f32_e32 v67, v67, v68
	v_fmamk_f32 v68, v53, 0xbf763a35, v71
	v_mul_f32_e32 v69, 0x3f3d2fb0, v55
	v_fmac_f32_e32 v66, 0x3f2c7751, v51
	v_add_f32_e32 v65, v65, v70
	v_fmac_f32_e32 v71, 0x3f763a35, v53
	v_add_f32_e32 v67, v67, v68
	v_fmamk_f32 v68, v52, 0xbf2c7751, v69
	v_mul_f32_e32 v70, 0x3f6eb680, v63
	v_add_f32_e32 v48, v48, v66
	v_add_f32_e32 v65, v65, v71
	v_fmac_f32_e32 v69, 0x3f2c7751, v52
	v_add_f32_e32 v66, v67, v68
	v_fmamk_f32 v67, v60, 0x3eb8f4ab, v70
	v_mul_f32_e32 v71, 0x3f3d2fb0, v61
	v_mul_f32_e32 v72, 0x3dbcf732, v64
	v_add_f32_e32 v65, v65, v69
	v_fmac_f32_e32 v70, 0xbeb8f4ab, v60
	v_add_f32_e32 v66, v66, v67
	v_fmamk_f32 v67, v57, 0x3f2c7751, v71
	v_mul_f32_e32 v73, 0x3dbcf732, v62
	v_fmamk_f32 v69, v49, 0x3f7ee86f, v72
	v_add_f32_e32 v70, v65, v70
	v_fmac_f32_e32 v72, 0xbf7ee86f, v49
	v_add_f32_e32 v74, v25, v67
	v_fmamk_f32 v75, v58, 0x3f7ee86f, v73
	v_mul_f32_e32 v68, 0xbf1a4643, v59
	v_add_f32_e32 v65, v66, v69
	v_add_f32_e32 v67, v70, v72
	v_fmac_f32_e32 v71, 0xbf2c7751, v57
	v_add_f32_e32 v66, v74, v75
	v_fmamk_f32 v72, v54, 0x3f4c4adb, v68
	v_mul_f32_e32 v70, 0xbf7ba420, v56
	v_fmac_f32_e32 v73, 0xbf7ee86f, v58
	v_add_f32_e32 v74, v25, v71
	v_mul_f32_e32 v71, 0xbf59a7d5, v55
	v_add_f32_e32 v72, v66, v72
	v_fmamk_f32 v75, v53, 0x3e3c28d5, v70
	v_fmac_f32_e32 v68, 0xbf4c4adb, v54
	v_add_f32_e32 v74, v74, v73
	v_add_f32_e32 v76, v25, v37
	v_fmac_f32_e32 v70, 0xbe3c28d5, v53
	v_add_f32_e32 v73, v72, v75
	v_fmamk_f32 v75, v52, 0xbf06c442, v71
	v_add_f32_e32 v68, v74, v68
	v_fmac_f32_e32 v71, 0x3f06c442, v52
	v_mul_f32_e32 v61, 0x3f6eb680, v61
	v_mul_f32_e32 v62, 0x3f3d2fb0, v62
	v_add_f32_e32 v73, v73, v75
	v_add_f32_e32 v75, v76, v35
	;; [unrolled: 1-line block ×3, first 2 shown]
	v_mul_f32_e32 v59, 0x3ee437d1, v59
	v_mul_f32_e32 v56, 0x3dbcf732, v56
	;; [unrolled: 1-line block ×3, first 2 shown]
	v_add_f32_e32 v70, v75, v27
	v_add_f32_e32 v68, v68, v71
	v_fmamk_f32 v71, v57, 0x3eb8f4ab, v61
	v_fmac_f32_e32 v61, 0xbeb8f4ab, v57
	v_mul_f32_e32 v72, 0xbe8c1d8e, v63
	v_add_f32_e32 v70, v70, v21
	v_mul_f32_e32 v76, 0x3ee437d1, v64
	v_mul_f32_e32 v69, 0xbf59a7d5, v50
	v_fmamk_f32 v74, v60, 0xbf763a35, v72
	v_add_f32_e32 v70, v70, v17
	v_fmac_f32_e32 v72, 0x3f763a35, v60
	v_fmamk_f32 v66, v51, 0x3f06c442, v69
	v_fmac_f32_e32 v69, 0xbf06c442, v51
	v_add_f32_e32 v73, v73, v74
	v_add_f32_e32 v57, v70, v13
	v_fmamk_f32 v70, v58, 0x3f2c7751, v62
	v_fmac_f32_e32 v62, 0xbf2c7751, v58
	v_add_f32_e32 v58, v25, v61
	v_add_f32_e32 v25, v25, v71
	v_add_f32_e32 v57, v57, v9
	v_fmamk_f32 v61, v54, 0x3f65296c, v59
	v_fmac_f32_e32 v59, 0xbf65296c, v54
	v_add_f32_e32 v58, v58, v62
	;; [unrolled: 5-line block ×3, first 2 shown]
	v_fmamk_f32 v53, v52, 0x3f763a35, v55
	v_add_f32_e32 v57, v57, v7
	v_fmac_f32_e32 v55, 0xbf763a35, v52
	v_add_f32_e32 v25, v25, v61
	v_mul_f32_e32 v59, 0xbf1a4643, v63
	v_add_f32_e32 v56, v58, v56
	v_add_f32_e32 v57, v11, v57
	v_fmamk_f32 v74, v49, 0xbf65296c, v76
	v_add_f32_e32 v25, v25, v54
	v_fmamk_f32 v54, v60, 0x3f4c4adb, v59
	v_add_f32_e32 v55, v56, v55
	v_add_f32_e32 v52, v15, v57
	v_mul_f32_e32 v57, 0xbf59a7d5, v64
	v_fmac_f32_e32 v59, 0xbf4c4adb, v60
	v_fmac_f32_e32 v76, 0x3f65296c, v49
	v_add_f32_e32 v25, v25, v53
	v_add_f32_e32 v52, v19, v52
	v_fmamk_f32 v53, v49, 0x3f06c442, v57
	v_add_f32_e32 v55, v55, v59
	v_mul_f32_e32 v58, 0x3f6eb680, v50
	v_fmac_f32_e32 v57, 0xbf06c442, v49
	v_add_f32_e32 v52, v23, v52
	v_mul_f32_e32 v49, 0xbf7ba420, v50
	v_add_f32_e32 v68, v68, v72
	v_add_f32_e32 v25, v25, v54
	;; [unrolled: 1-line block ×4, first 2 shown]
	v_fmamk_f32 v55, v51, 0x3e3c28d5, v49
	v_fmac_f32_e32 v49, 0xbe3c28d5, v51
	v_mul_u32_u24_e32 v57, 0x44, v4
	v_add_f32_e32 v56, v68, v76
	v_add_f32_e32 v50, v33, v50
	v_fmamk_f32 v52, v51, 0xbeb8f4ab, v58
	v_fmac_f32_e32 v58, 0x3eb8f4ab, v51
	v_add_f32_e32 v67, v67, v69
	v_add_f32_e32 v69, v73, v74
	;; [unrolled: 1-line block ×5, first 2 shown]
	v_add3_u32 v51, 0, v57, v0
	v_add_f32_e32 v53, v56, v58
	v_add_f32_e32 v54, v65, v66
	v_add_f32_e32 v52, v69, v52
	v_add_f32_e32 v25, v25, v55
	ds_write2_b32 v51, v50, v49 offset1:1
	ds_write2_b32 v51, v53, v67 offset0:2 offset1:3
	ds_write2_b32 v51, v48, v46 offset0:4 offset1:5
	;; [unrolled: 1-line block ×7, first 2 shown]
	ds_write_b32 v51, v25 offset:64
.LBB0_14:
	s_or_b32 exec_lo, exec_lo, s1
	s_waitcnt vmcnt(16)
	v_lshlrev_b32_e32 v25, 2, v4
	s_waitcnt vmcnt(0) lgkmcnt(0)
	s_barrier
	buffer_gl0_inv
	v_add_nc_u32_e32 v50, 0, v25
	v_add3_u32 v49, 0, v0, v25
	v_add_nc_u32_e32 v48, v50, v0
	ds_read2_b32 v[43:44], v48 offset0:17 offset1:34
	ds_read2_b32 v[39:40], v48 offset0:51 offset1:68
	;; [unrolled: 1-line block ×4, first 2 shown]
	ds_read_b32 v25, v49
	ds_read_b32 v47, v48 offset:612
	s_waitcnt lgkmcnt(0)
	s_barrier
	buffer_gl0_inv
	s_and_saveexec_b32 s1, s0
	s_cbranch_execz .LBB0_16
; %bb.15:
	v_add_f32_e32 v51, v26, v38
	v_sub_f32_e32 v33, v35, v33
	v_sub_f32_e32 v31, v37, v31
	v_add_f32_e32 v37, v38, v32
	v_add_f32_e32 v38, v36, v34
	;; [unrolled: 1-line block ×3, first 2 shown]
	v_mul_f32_e32 v57, 0xbf2c7751, v33
	v_mul_f32_e32 v36, 0xbeb8f4ab, v31
	;; [unrolled: 1-line block ×4, first 2 shown]
	v_add_f32_e32 v35, v35, v28
	v_mul_f32_e32 v53, 0xbf7ee86f, v31
	v_mul_f32_e32 v54, 0xbf763a35, v31
	v_mul_f32_e32 v55, 0xbf4c4adb, v31
	v_mul_f32_e32 v56, 0xbf06c442, v31
	v_add_f32_e32 v35, v35, v22
	v_mul_f32_e32 v31, 0xbe3c28d5, v31
	v_fma_f32 v62, 0x3f6eb680, v37, -v36
	v_fmac_f32_e32 v36, 0x3f6eb680, v37
	v_fma_f32 v63, 0x3f3d2fb0, v37, -v51
	v_add_f32_e32 v35, v35, v18
	v_fmac_f32_e32 v51, 0x3f3d2fb0, v37
	v_fma_f32 v64, 0x3ee437d1, v37, -v52
	v_fmac_f32_e32 v52, 0x3ee437d1, v37
	v_fma_f32 v65, 0x3dbcf732, v37, -v53
	v_add_f32_e32 v35, v35, v14
	v_fmac_f32_e32 v53, 0x3dbcf732, v37
	;; [unrolled: 5-line block ×4, first 2 shown]
	v_mul_f32_e32 v59, 0xbf4c4adb, v33
	v_mul_f32_e32 v60, 0xbe3c28d5, v33
	v_fma_f32 v37, 0x3f3d2fb0, v38, -v57
	v_add_f32_e32 v35, v35, v8
	v_fmac_f32_e32 v57, 0x3f3d2fb0, v38
	v_add_f32_e32 v62, v26, v62
	v_add_f32_e32 v36, v26, v36
	;; [unrolled: 1-line block ×20, first 2 shown]
	v_fma_f32 v71, 0xbf1a4643, v38, -v59
	v_fmac_f32_e32 v59, 0xbf1a4643, v38
	v_mul_f32_e32 v58, 0xbf7ee86f, v33
	v_add_f32_e32 v35, v30, v35
	v_mul_f32_e32 v61, 0x3f06c442, v33
	v_sub_f32_e32 v27, v27, v29
	v_add_f32_e32 v52, v52, v59
	v_fma_f32 v70, 0x3dbcf732, v38, -v58
	v_add_f32_e32 v26, v34, v35
	v_add_f32_e32 v34, v36, v57
	v_mul_f32_e32 v57, 0x3f763a35, v33
	v_fmac_f32_e32 v58, 0x3dbcf732, v38
	v_add_f32_e32 v28, v28, v30
	v_add_f32_e32 v26, v32, v26
	v_fma_f32 v32, 0xbf7ba420, v38, -v60
	v_fmac_f32_e32 v60, 0xbf7ba420, v38
	v_fma_f32 v59, 0xbe8c1d8e, v38, -v57
	v_fmac_f32_e32 v57, 0xbe8c1d8e, v38
	v_mul_f32_e32 v30, 0xbf65296c, v27
	v_add_f32_e32 v37, v62, v37
	v_add_f32_e32 v53, v53, v60
	v_mul_f32_e32 v60, 0x3f65296c, v33
	v_mul_f32_e32 v33, 0x3eb8f4ab, v33
	v_add_f32_e32 v55, v55, v57
	v_add_f32_e32 v36, v51, v58
	v_fma_f32 v58, 0xbf59a7d5, v38, -v61
	v_fma_f32 v29, 0x3ee437d1, v38, -v60
	v_fmac_f32_e32 v60, 0x3ee437d1, v38
	v_fma_f32 v57, 0x3f6eb680, v38, -v33
	v_fmac_f32_e32 v33, 0x3f6eb680, v38
	v_fmac_f32_e32 v61, 0xbf59a7d5, v38
	v_add_f32_e32 v35, v63, v70
	v_add_f32_e32 v38, v56, v60
	;; [unrolled: 1-line block ×3, first 2 shown]
	v_fma_f32 v57, 0x3ee437d1, v28, -v30
	v_mul_f32_e32 v60, 0xbf4c4adb, v27
	v_add_f32_e32 v31, v31, v33
	v_fmac_f32_e32 v30, 0x3ee437d1, v28
	v_mul_f32_e32 v33, 0x3e3c28d5, v27
	v_add_f32_e32 v51, v64, v71
	v_add_f32_e32 v54, v54, v61
	;; [unrolled: 1-line block ×3, first 2 shown]
	v_fma_f32 v57, 0xbf1a4643, v28, -v60
	v_add_f32_e32 v30, v34, v30
	v_fma_f32 v34, 0xbf7ba420, v28, -v33
	v_mul_f32_e32 v61, 0x3f763a35, v27
	v_add_f32_e32 v32, v65, v32
	v_add_f32_e32 v35, v35, v57
	v_mul_f32_e32 v57, 0x3f2c7751, v27
	v_add_f32_e32 v34, v51, v34
	v_fma_f32 v51, 0xbe8c1d8e, v28, -v61
	v_fmac_f32_e32 v61, 0xbe8c1d8e, v28
	v_add_f32_e32 v58, v66, v58
	v_fmac_f32_e32 v33, 0xbf7ba420, v28
	v_add_f32_e32 v29, v68, v29
	v_add_f32_e32 v32, v32, v51
	v_fma_f32 v51, 0x3f3d2fb0, v28, -v57
	v_add_f32_e32 v53, v53, v61
	v_mul_f32_e32 v61, 0xbf7ee86f, v27
	v_fmac_f32_e32 v60, 0xbf1a4643, v28
	v_add_f32_e32 v33, v52, v33
	v_mul_f32_e32 v52, 0xbeb8f4ab, v27
	v_add_f32_e32 v51, v58, v51
	v_fma_f32 v58, 0x3dbcf732, v28, -v61
	v_mul_f32_e32 v27, 0xbf06c442, v27
	v_sub_f32_e32 v21, v21, v23
	v_add_f32_e32 v36, v36, v60
	v_fma_f32 v60, 0x3f6eb680, v28, -v52
	v_fmac_f32_e32 v52, 0x3f6eb680, v28
	v_add_f32_e32 v23, v29, v58
	v_fma_f32 v29, 0xbf59a7d5, v28, -v27
	v_add_f32_e32 v22, v22, v24
	v_mul_f32_e32 v24, 0xbf7ee86f, v21
	v_fmac_f32_e32 v27, 0xbf59a7d5, v28
	v_add_f32_e32 v52, v55, v52
	v_fmac_f32_e32 v57, 0x3f3d2fb0, v28
	v_fmac_f32_e32 v61, 0x3dbcf732, v28
	v_fma_f32 v55, 0x3dbcf732, v22, -v24
	v_fmac_f32_e32 v24, 0x3dbcf732, v22
	v_add_f32_e32 v27, v31, v27
	v_mul_f32_e32 v31, 0x3f763a35, v21
	v_add_f32_e32 v28, v56, v29
	v_mul_f32_e32 v29, 0xbe3c28d5, v21
	v_add_f32_e32 v24, v30, v24
	v_add_f32_e32 v37, v37, v55
	v_fma_f32 v30, 0xbe8c1d8e, v22, -v31
	v_mul_f32_e32 v55, 0x3eb8f4ab, v21
	v_fma_f32 v56, 0xbf7ba420, v22, -v29
	v_fmac_f32_e32 v29, 0xbf7ba420, v22
	v_fmac_f32_e32 v31, 0xbe8c1d8e, v22
	v_add_f32_e32 v30, v34, v30
	v_mul_f32_e32 v34, 0xbf65296c, v21
	v_add_f32_e32 v54, v54, v57
	v_add_f32_e32 v35, v35, v56
	;; [unrolled: 1-line block ×3, first 2 shown]
	v_fma_f32 v36, 0x3f6eb680, v22, -v55
	v_add_f32_e32 v31, v33, v31
	v_fmac_f32_e32 v55, 0x3f6eb680, v22
	v_mul_f32_e32 v33, 0xbf06c442, v21
	v_fma_f32 v56, 0x3ee437d1, v22, -v34
	v_fmac_f32_e32 v34, 0x3ee437d1, v22
	v_add_f32_e32 v32, v32, v36
	v_add_f32_e32 v36, v53, v55
	v_fma_f32 v53, 0xbf59a7d5, v22, -v33
	v_fmac_f32_e32 v33, 0xbf59a7d5, v22
	v_add_f32_e32 v34, v54, v34
	v_mul_f32_e32 v54, 0x3f4c4adb, v21
	v_mul_f32_e32 v21, 0x3f2c7751, v21
	v_sub_f32_e32 v17, v17, v19
	v_add_f32_e32 v38, v38, v61
	v_add_f32_e32 v33, v52, v33
	v_fma_f32 v19, 0xbf1a4643, v22, -v54
	v_fmac_f32_e32 v54, 0xbf1a4643, v22
	v_fma_f32 v52, 0x3f3d2fb0, v22, -v21
	v_add_f32_e32 v18, v18, v20
	v_mul_f32_e32 v20, 0xbf763a35, v17
	v_fmac_f32_e32 v21, 0x3f3d2fb0, v22
	v_add_f32_e32 v19, v23, v19
	v_add_f32_e32 v22, v38, v54
	v_add_f32_e32 v23, v28, v52
	v_fma_f32 v28, 0xbe8c1d8e, v18, -v20
	v_mul_f32_e32 v38, 0x3f06c442, v17
	v_add_f32_e32 v21, v27, v21
	v_fmac_f32_e32 v20, 0xbe8c1d8e, v18
	v_mul_f32_e32 v27, 0x3f2c7751, v17
	v_add_f32_e32 v59, v67, v59
	v_add_f32_e32 v28, v37, v28
	v_fma_f32 v37, 0xbf59a7d5, v18, -v38
	v_add_f32_e32 v20, v24, v20
	v_fma_f32 v24, 0x3f3d2fb0, v18, -v27
	v_mul_f32_e32 v52, 0xbf65296c, v17
	v_fmac_f32_e32 v27, 0x3f3d2fb0, v18
	v_add_f32_e32 v57, v59, v60
	v_fmac_f32_e32 v38, 0xbf59a7d5, v18
	v_add_f32_e32 v35, v35, v37
	v_add_f32_e32 v24, v30, v24
	v_fma_f32 v30, 0x3ee437d1, v18, -v52
	v_mul_f32_e32 v37, 0xbe3c28d5, v17
	v_fmac_f32_e32 v52, 0x3ee437d1, v18
	v_add_f32_e32 v27, v31, v27
	v_mul_f32_e32 v31, 0x3f7ee86f, v17
	v_add_f32_e32 v53, v57, v53
	v_add_f32_e32 v29, v29, v38
	v_add_f32_e32 v30, v32, v30
	v_fma_f32 v32, 0xbf7ba420, v18, -v37
	v_add_f32_e32 v36, v36, v52
	v_fmac_f32_e32 v37, 0xbf7ba420, v18
	v_fma_f32 v38, 0x3dbcf732, v18, -v31
	v_mul_f32_e32 v52, 0xbeb8f4ab, v17
	v_mul_f32_e32 v17, 0xbf4c4adb, v17
	v_sub_f32_e32 v13, v13, v15
	v_add_f32_e32 v34, v34, v37
	v_add_f32_e32 v37, v53, v38
	v_fma_f32 v38, 0x3f6eb680, v18, -v52
	v_add_f32_e32 v14, v14, v16
	v_mul_f32_e32 v16, 0xbf4c4adb, v13
	v_fmac_f32_e32 v31, 0x3dbcf732, v18
	v_fmac_f32_e32 v52, 0x3f6eb680, v18
	v_add_f32_e32 v15, v19, v38
	v_fma_f32 v19, 0xbf1a4643, v18, -v17
	v_fmac_f32_e32 v17, 0xbf1a4643, v18
	v_add_f32_e32 v31, v33, v31
	v_sub_f32_e32 v9, v9, v11
	v_add_f32_e32 v22, v22, v52
	v_add_f32_e32 v18, v23, v19
	v_mul_f32_e32 v19, 0x3f763a35, v13
	v_fma_f32 v23, 0xbf1a4643, v14, -v16
	v_fmac_f32_e32 v16, 0xbf1a4643, v14
	v_add_f32_e32 v17, v21, v17
	v_mul_f32_e32 v21, 0xbeb8f4ab, v13
	v_fma_f32 v33, 0xbe8c1d8e, v14, -v19
	v_add_f32_e32 v23, v28, v23
	v_add_f32_e32 v16, v20, v16
	v_fmac_f32_e32 v19, 0xbe8c1d8e, v14
	v_fma_f32 v20, 0x3f6eb680, v14, -v21
	v_add_f32_e32 v28, v35, v33
	v_mul_f32_e32 v33, 0xbf06c442, v13
	v_fmac_f32_e32 v21, 0x3f6eb680, v14
	v_add_f32_e32 v19, v29, v19
	v_add_f32_e32 v20, v24, v20
	v_mul_f32_e32 v24, 0x3f7ee86f, v13
	v_fma_f32 v29, 0xbf59a7d5, v14, -v33
	v_add_f32_e32 v21, v27, v21
	v_fmac_f32_e32 v33, 0xbf59a7d5, v14
	v_mul_f32_e32 v27, 0xbf2c7751, v13
	v_fma_f32 v35, 0x3dbcf732, v14, -v24
	v_fmac_f32_e32 v24, 0x3dbcf732, v14
	v_add_f32_e32 v29, v30, v29
	v_add_f32_e32 v30, v36, v33
	v_fma_f32 v33, 0x3f3d2fb0, v14, -v27
	v_fmac_f32_e32 v27, 0x3f3d2fb0, v14
	v_add_f32_e32 v24, v34, v24
	v_mul_f32_e32 v34, 0xbe3c28d5, v13
	v_mul_f32_e32 v13, 0x3f65296c, v13
	v_add_f32_e32 v10, v10, v12
	v_add_f32_e32 v27, v31, v27
	v_mul_f32_e32 v12, 0xbf06c442, v9
	v_fma_f32 v11, 0xbf7ba420, v14, -v34
	v_fmac_f32_e32 v34, 0xbf7ba420, v14
	v_fma_f32 v31, 0x3ee437d1, v14, -v13
	v_fmac_f32_e32 v13, 0x3ee437d1, v14
	v_add_f32_e32 v33, v37, v33
	v_add_f32_e32 v11, v15, v11
	;; [unrolled: 1-line block ×4, first 2 shown]
	v_fma_f32 v18, 0xbf59a7d5, v10, -v12
	v_mul_f32_e32 v22, 0x3f65296c, v9
	v_add_f32_e32 v13, v17, v13
	v_fmac_f32_e32 v12, 0xbf59a7d5, v10
	v_mul_f32_e32 v17, 0xbf7ee86f, v9
	v_add_f32_e32 v18, v23, v18
	v_fma_f32 v23, 0x3ee437d1, v10, -v22
	v_fmac_f32_e32 v22, 0x3ee437d1, v10
	v_add_f32_e32 v12, v16, v12
	v_fma_f32 v16, 0x3dbcf732, v10, -v17
	v_mul_f32_e32 v31, 0x3f4c4adb, v9
	v_fmac_f32_e32 v17, 0x3dbcf732, v10
	v_add_f32_e32 v19, v19, v22
	v_mul_f32_e32 v22, 0xbeb8f4ab, v9
	v_add_f32_e32 v16, v20, v16
	v_fma_f32 v20, 0xbf1a4643, v10, -v31
	v_fmac_f32_e32 v31, 0xbf1a4643, v10
	v_add_f32_e32 v17, v21, v17
	v_mul_f32_e32 v21, 0xbe3c28d5, v9
	v_add_f32_e32 v23, v28, v23
	v_add_f32_e32 v20, v29, v20
	v_fma_f32 v28, 0x3f6eb680, v10, -v22
	v_add_f32_e32 v29, v30, v31
	v_fmac_f32_e32 v22, 0x3f6eb680, v10
	v_fma_f32 v30, 0xbf7ba420, v10, -v21
	v_mul_f32_e32 v31, 0x3f2c7751, v9
	v_mul_f32_e32 v9, 0xbf763a35, v9
	v_sub_f32_e32 v5, v5, v7
	v_add_f32_e32 v22, v24, v22
	v_add_f32_e32 v24, v33, v30
	v_fma_f32 v30, 0x3f3d2fb0, v10, -v31
	v_add_f32_e32 v6, v6, v8
	v_mul_f32_e32 v8, 0xbe3c28d5, v5
	v_fmac_f32_e32 v21, 0xbf7ba420, v10
	v_fmac_f32_e32 v31, 0x3f3d2fb0, v10
	v_add_f32_e32 v7, v11, v30
	v_fma_f32 v11, 0xbe8c1d8e, v10, -v9
	v_fmac_f32_e32 v9, 0xbe8c1d8e, v10
	v_add_f32_e32 v21, v27, v21
	v_add_f32_e32 v51, v51, v56
	;; [unrolled: 1-line block ×4, first 2 shown]
	v_mul_f32_e32 v11, 0x3eb8f4ab, v5
	v_fma_f32 v15, 0xbf7ba420, v6, -v8
	v_fmac_f32_e32 v8, 0xbf7ba420, v6
	v_add_f32_e32 v9, v13, v9
	v_mul_f32_e32 v13, 0xbf06c442, v5
	v_fma_f32 v27, 0x3f6eb680, v6, -v11
	v_add_f32_e32 v15, v18, v15
	v_add_f32_e32 v8, v12, v8
	v_fmac_f32_e32 v11, 0x3f6eb680, v6
	v_fma_f32 v12, 0xbf59a7d5, v6, -v13
	v_add_f32_e32 v18, v23, v27
	v_mul_f32_e32 v23, 0x3f2c7751, v5
	v_fmac_f32_e32 v13, 0xbf59a7d5, v6
	v_add_f32_e32 v32, v51, v32
	v_add_f32_e32 v12, v16, v12
	v_mul_f32_e32 v16, 0xbf4c4adb, v5
	v_add_f32_e32 v11, v19, v11
	v_fma_f32 v19, 0x3f3d2fb0, v6, -v23
	v_add_f32_e32 v13, v17, v13
	v_fmac_f32_e32 v23, 0x3f3d2fb0, v6
	v_mul_f32_e32 v17, 0x3f65296c, v5
	v_fma_f32 v27, 0xbf1a4643, v6, -v16
	v_fmac_f32_e32 v16, 0xbf1a4643, v6
	v_add_f32_e32 v32, v32, v35
	v_add_f32_e32 v19, v20, v19
	;; [unrolled: 1-line block ×3, first 2 shown]
	v_fma_f32 v23, 0x3ee437d1, v6, -v17
	v_fmac_f32_e32 v17, 0x3ee437d1, v6
	v_add_f32_e32 v16, v22, v16
	v_mul_f32_e32 v22, 0xbf763a35, v5
	v_add_f32_e32 v28, v32, v28
	v_mul_f32_e32 v5, 0x3f7ee86f, v5
	v_add_f32_e32 v17, v21, v17
	v_lshlrev_b32_e32 v21, 6, v4
	v_add_f32_e32 v23, v24, v23
	v_fma_f32 v24, 0xbe8c1d8e, v6, -v22
	v_add_f32_e32 v27, v28, v27
	v_fma_f32 v28, 0x3dbcf732, v6, -v5
	v_fmac_f32_e32 v5, 0x3dbcf732, v6
	v_fmac_f32_e32 v22, 0xbe8c1d8e, v6
	v_add3_u32 v0, v50, v21, v0
	v_add_f32_e32 v6, v7, v24
	v_add_f32_e32 v10, v10, v28
	;; [unrolled: 1-line block ×4, first 2 shown]
	ds_write2_b32 v0, v26, v15 offset1:1
	ds_write2_b32 v0, v18, v12 offset0:2 offset1:3
	ds_write2_b32 v0, v19, v27 offset0:4 offset1:5
	;; [unrolled: 1-line block ×7, first 2 shown]
	ds_write_b32 v0, v8 offset:64
.LBB0_16:
	s_or_b32 exec_lo, exec_lo, s1
	s_waitcnt lgkmcnt(0)
	s_barrier
	buffer_gl0_inv
	s_and_saveexec_b32 s0, vcc_lo
	s_cbranch_execz .LBB0_18
; %bb.17:
	v_mul_u32_u24_e32 v0, 9, v4
	v_mov_b32_e32 v4, 0
	v_lshlrev_b32_e32 v0, 3, v0
	s_clause 0x4
	global_load_dwordx4 v[5:8], v0, s[8:9]
	global_load_dwordx4 v[9:12], v0, s[8:9] offset:16
	global_load_dwordx4 v[13:16], v0, s[8:9] offset:48
	;; [unrolled: 1-line block ×3, first 2 shown]
	global_load_dwordx2 v[21:22], v0, s[8:9] offset:64
	ds_read2_b32 v[23:24], v48 offset0:17 offset1:34
	ds_read2_b32 v[26:27], v48 offset0:119 offset1:136
	v_lshlrev_b64 v[0:1], 3, v[1:2]
	ds_read2_b32 v[28:29], v48 offset0:51 offset1:68
	ds_read2_b32 v[30:31], v48 offset0:85 offset1:102
	v_lshlrev_b64 v[2:3], 3, v[3:4]
	ds_read_b32 v4, v49
	ds_read_b32 v32, v48 offset:612
	v_add_co_u32 v0, vcc_lo, s2, v0
	v_add_co_ci_u32_e32 v1, vcc_lo, s3, v1, vcc_lo
	v_add_co_u32 v0, vcc_lo, v0, v2
	v_add_co_ci_u32_e32 v1, vcc_lo, v1, v3, vcc_lo
	s_waitcnt vmcnt(4)
	v_mul_f32_e32 v2, v44, v8
	s_waitcnt vmcnt(3)
	v_mul_f32_e32 v3, v40, v12
	;; [unrolled: 2-line block ×4, first 2 shown]
	v_mul_f32_e32 v35, v39, v9
	v_mul_f32_e32 v36, v41, v17
	s_waitcnt vmcnt(0)
	v_mul_f32_e32 v37, v47, v21
	v_mul_f32_e32 v38, v45, v13
	;; [unrolled: 1-line block ×6, first 2 shown]
	s_waitcnt lgkmcnt(5)
	v_mul_f32_e32 v8, v24, v8
	v_mul_f32_e32 v47, v47, v22
	s_waitcnt lgkmcnt(4)
	v_mul_f32_e32 v16, v27, v16
	s_waitcnt lgkmcnt(3)
	;; [unrolled: 2-line block ×3, first 2 shown]
	v_mul_f32_e32 v20, v31, v20
	v_mul_f32_e32 v43, v43, v6
	v_fma_f32 v2, v24, v7, -v2
	v_fma_f32 v3, v29, v11, -v3
	v_fma_f32 v24, v27, v15, -v33
	v_fma_f32 v27, v31, v19, -v34
	v_fmac_f32_e32 v35, v28, v10
	v_fmac_f32_e32 v36, v30, v18
	s_waitcnt lgkmcnt(0)
	v_fmac_f32_e32 v37, v32, v22
	v_fmac_f32_e32 v38, v26, v14
	;; [unrolled: 1-line block ×3, first 2 shown]
	v_fma_f32 v6, v28, v9, -v39
	v_fma_f32 v9, v30, v17, -v41
	;; [unrolled: 1-line block ×3, first 2 shown]
	v_fmac_f32_e32 v8, v44, v7
	v_fma_f32 v7, v32, v21, -v47
	v_fmac_f32_e32 v12, v40, v11
	v_fmac_f32_e32 v20, v42, v19
	v_fma_f32 v5, v23, v5, -v43
	v_sub_f32_e32 v11, v2, v3
	v_sub_f32_e32 v13, v24, v27
	;; [unrolled: 1-line block ×4, first 2 shown]
	v_add_f32_e32 v21, v36, v38
	v_add_f32_e32 v29, v9, v10
	v_sub_f32_e32 v26, v6, v9
	v_sub_f32_e32 v28, v7, v10
	;; [unrolled: 1-line block ×4, first 2 shown]
	v_add_f32_e32 v44, v6, v7
	v_fmac_f32_e32 v16, v46, v15
	v_add_f32_e32 v14, v3, v27
	v_sub_f32_e32 v30, v35, v37
	v_add_f32_e32 v34, v2, v24
	v_sub_f32_e32 v39, v36, v35
	v_sub_f32_e32 v40, v38, v37
	v_add_f32_e32 v11, v11, v13
	v_add_f32_e32 v13, v18, v19
	v_fma_f32 v18, -0.5, v21, v48
	v_fma_f32 v21, -0.5, v29, v5
	v_sub_f32_e32 v22, v6, v7
	v_sub_f32_e32 v31, v36, v38
	v_add_f32_e32 v41, v35, v37
	v_sub_f32_e32 v42, v9, v6
	v_sub_f32_e32 v43, v10, v7
	v_add_f32_e32 v45, v2, v4
	v_add_f32_e32 v6, v6, v5
	;; [unrolled: 1-line block ×4, first 2 shown]
	v_fma_f32 v33, -0.5, v44, v5
	v_sub_f32_e32 v15, v8, v16
	v_sub_f32_e32 v46, v8, v12
	v_sub_f32_e32 v51, v12, v8
	v_add_f32_e32 v53, v8, v16
	v_add_f32_e32 v8, v25, v8
	;; [unrolled: 1-line block ×4, first 2 shown]
	v_fma_f32 v14, -0.5, v14, v4
	v_fma_f32 v28, -0.5, v34, v4
	v_add_f32_e32 v4, v39, v40
	v_fmamk_f32 v39, v30, 0xbf737871, v21
	v_fmac_f32_e32 v21, 0x3f737871, v30
	v_sub_f32_e32 v17, v12, v20
	v_sub_f32_e32 v23, v9, v10
	;; [unrolled: 1-line block ×3, first 2 shown]
	v_fma_f32 v29, -0.5, v41, v48
	v_add_f32_e32 v32, v42, v43
	v_add_f32_e32 v3, v3, v45
	;; [unrolled: 1-line block ×3, first 2 shown]
	v_fmamk_f32 v42, v31, 0x3f737871, v33
	v_fmac_f32_e32 v33, 0xbf737871, v31
	v_add_f32_e32 v8, v8, v12
	v_add_f32_e32 v12, v36, v35
	v_sub_f32_e32 v2, v2, v24
	v_fma_f32 v34, -0.5, v49, v25
	v_fmamk_f32 v36, v22, 0x3f737871, v18
	v_fmac_f32_e32 v18, 0xbf737871, v22
	v_fmac_f32_e32 v21, 0x3f167918, v31
	v_fma_f32 v25, -0.5, v53, v25
	v_fmamk_f32 v40, v17, 0x3f737871, v28
	v_fmamk_f32 v41, v23, 0xbf737871, v29
	v_fmac_f32_e32 v28, 0xbf737871, v17
	v_fmac_f32_e32 v29, 0x3f737871, v23
	v_add_f32_e32 v3, v27, v3
	v_add_f32_e32 v5, v10, v5
	v_fmac_f32_e32 v33, 0x3f167918, v30
	v_fmac_f32_e32 v42, 0xbf167918, v30
	v_add_f32_e32 v8, v8, v20
	v_add_f32_e32 v12, v38, v12
	v_fmac_f32_e32 v39, 0xbf167918, v31
	v_sub_f32_e32 v47, v16, v20
	v_fmamk_f32 v35, v15, 0xbf737871, v14
	v_fmac_f32_e32 v14, 0x3f737871, v15
	v_fmamk_f32 v10, v2, 0x3f737871, v34
	v_fmac_f32_e32 v34, 0xbf737871, v2
	v_fmac_f32_e32 v18, 0xbf167918, v23
	;; [unrolled: 1-line block ×3, first 2 shown]
	v_sub_f32_e32 v52, v20, v16
	v_fmamk_f32 v27, v50, 0xbf737871, v25
	v_fmac_f32_e32 v25, 0x3f737871, v50
	v_fmac_f32_e32 v40, 0xbf167918, v15
	;; [unrolled: 1-line block ×4, first 2 shown]
	v_add_f32_e32 v15, v24, v3
	v_add_f32_e32 v5, v7, v5
	v_fmac_f32_e32 v33, 0x3e9e377a, v32
	v_fmac_f32_e32 v41, 0x3f167918, v22
	;; [unrolled: 1-line block ×4, first 2 shown]
	v_add_f32_e32 v7, v16, v8
	v_add_f32_e32 v8, v37, v12
	v_fmac_f32_e32 v39, 0x3e9e377a, v19
	v_add_f32_e32 v6, v46, v47
	v_fmac_f32_e32 v14, 0x3f167918, v17
	v_fmac_f32_e32 v34, 0xbf167918, v50
	;; [unrolled: 1-line block ×3, first 2 shown]
	v_mul_f32_e32 v16, 0x3f4f1bbd, v21
	v_mul_f32_e32 v21, 0xbf167918, v21
	v_add_f32_e32 v9, v51, v52
	v_fmac_f32_e32 v25, 0xbf167918, v2
	v_fmac_f32_e32 v29, 0x3e9e377a, v4
	v_sub_f32_e32 v3, v15, v5
	v_add_f32_e32 v5, v15, v5
	v_mul_f32_e32 v15, 0x3e9e377a, v33
	v_mul_f32_e32 v22, 0xbf737871, v33
	v_fmac_f32_e32 v27, 0x3f167918, v2
	v_fmac_f32_e32 v41, 0x3e9e377a, v4
	v_mul_f32_e32 v12, 0xbe9e377a, v42
	v_mul_f32_e32 v20, 0xbf737871, v42
	v_fmac_f32_e32 v35, 0xbf167918, v17
	v_fmac_f32_e32 v10, 0x3f167918, v50
	;; [unrolled: 1-line block ×3, first 2 shown]
	v_sub_f32_e32 v2, v7, v8
	v_add_f32_e32 v4, v7, v8
	v_mul_f32_e32 v8, 0xbf4f1bbd, v39
	v_mul_f32_e32 v19, 0xbf167918, v39
	v_fmac_f32_e32 v14, 0x3e9e377a, v11
	v_fmac_f32_e32 v34, 0x3e9e377a, v6
	;; [unrolled: 1-line block ×16, first 2 shown]
	v_sub_f32_e32 v9, v14, v16
	v_add_f32_e32 v17, v14, v16
	v_add_f32_e32 v16, v34, v21
	v_sub_f32_e32 v7, v28, v15
	v_add_f32_e32 v15, v28, v15
	v_add_f32_e32 v14, v25, v22
	global_store_dwordx2 v[0:1], v[4:5], off
	global_store_dwordx2 v[0:1], v[2:3], off offset:680
	v_sub_f32_e32 v5, v40, v12
	v_add_f32_e32 v13, v40, v12
	v_add_f32_e32 v12, v27, v20
	v_sub_f32_e32 v2, v10, v19
	v_add_f32_e32 v11, v35, v8
	v_add_f32_e32 v10, v10, v19
	v_sub_f32_e32 v3, v35, v8
	v_sub_f32_e32 v8, v34, v21
	;; [unrolled: 1-line block ×4, first 2 shown]
	global_store_dwordx2 v[0:1], v[16:17], off offset:136
	global_store_dwordx2 v[0:1], v[14:15], off offset:272
	;; [unrolled: 1-line block ×8, first 2 shown]
.LBB0_18:
	s_endpgm
	.section	.rodata,"a",@progbits
	.p2align	6, 0x0
	.amdhsa_kernel fft_rtc_back_len170_factors_17_10_wgs_119_tpt_17_halfLds_sp_ip_CI_unitstride_sbrr_dirReg
		.amdhsa_group_segment_fixed_size 0
		.amdhsa_private_segment_fixed_size 0
		.amdhsa_kernarg_size 88
		.amdhsa_user_sgpr_count 6
		.amdhsa_user_sgpr_private_segment_buffer 1
		.amdhsa_user_sgpr_dispatch_ptr 0
		.amdhsa_user_sgpr_queue_ptr 0
		.amdhsa_user_sgpr_kernarg_segment_ptr 1
		.amdhsa_user_sgpr_dispatch_id 0
		.amdhsa_user_sgpr_flat_scratch_init 0
		.amdhsa_user_sgpr_private_segment_size 0
		.amdhsa_wavefront_size32 1
		.amdhsa_uses_dynamic_stack 0
		.amdhsa_system_sgpr_private_segment_wavefront_offset 0
		.amdhsa_system_sgpr_workgroup_id_x 1
		.amdhsa_system_sgpr_workgroup_id_y 0
		.amdhsa_system_sgpr_workgroup_id_z 0
		.amdhsa_system_sgpr_workgroup_info 0
		.amdhsa_system_vgpr_workitem_id 0
		.amdhsa_next_free_vgpr 77
		.amdhsa_next_free_sgpr 21
		.amdhsa_reserve_vcc 1
		.amdhsa_reserve_flat_scratch 0
		.amdhsa_float_round_mode_32 0
		.amdhsa_float_round_mode_16_64 0
		.amdhsa_float_denorm_mode_32 3
		.amdhsa_float_denorm_mode_16_64 3
		.amdhsa_dx10_clamp 1
		.amdhsa_ieee_mode 1
		.amdhsa_fp16_overflow 0
		.amdhsa_workgroup_processor_mode 1
		.amdhsa_memory_ordered 1
		.amdhsa_forward_progress 0
		.amdhsa_shared_vgpr_count 0
		.amdhsa_exception_fp_ieee_invalid_op 0
		.amdhsa_exception_fp_denorm_src 0
		.amdhsa_exception_fp_ieee_div_zero 0
		.amdhsa_exception_fp_ieee_overflow 0
		.amdhsa_exception_fp_ieee_underflow 0
		.amdhsa_exception_fp_ieee_inexact 0
		.amdhsa_exception_int_div_zero 0
	.end_amdhsa_kernel
	.text
.Lfunc_end0:
	.size	fft_rtc_back_len170_factors_17_10_wgs_119_tpt_17_halfLds_sp_ip_CI_unitstride_sbrr_dirReg, .Lfunc_end0-fft_rtc_back_len170_factors_17_10_wgs_119_tpt_17_halfLds_sp_ip_CI_unitstride_sbrr_dirReg
                                        ; -- End function
	.section	.AMDGPU.csdata,"",@progbits
; Kernel info:
; codeLenInByte = 7704
; NumSgprs: 23
; NumVgprs: 77
; ScratchSize: 0
; MemoryBound: 0
; FloatMode: 240
; IeeeMode: 1
; LDSByteSize: 0 bytes/workgroup (compile time only)
; SGPRBlocks: 2
; VGPRBlocks: 9
; NumSGPRsForWavesPerEU: 23
; NumVGPRsForWavesPerEU: 77
; Occupancy: 12
; WaveLimiterHint : 1
; COMPUTE_PGM_RSRC2:SCRATCH_EN: 0
; COMPUTE_PGM_RSRC2:USER_SGPR: 6
; COMPUTE_PGM_RSRC2:TRAP_HANDLER: 0
; COMPUTE_PGM_RSRC2:TGID_X_EN: 1
; COMPUTE_PGM_RSRC2:TGID_Y_EN: 0
; COMPUTE_PGM_RSRC2:TGID_Z_EN: 0
; COMPUTE_PGM_RSRC2:TIDIG_COMP_CNT: 0
	.text
	.p2alignl 6, 3214868480
	.fill 48, 4, 3214868480
	.type	__hip_cuid_76b877d12ddac992,@object ; @__hip_cuid_76b877d12ddac992
	.section	.bss,"aw",@nobits
	.globl	__hip_cuid_76b877d12ddac992
__hip_cuid_76b877d12ddac992:
	.byte	0                               ; 0x0
	.size	__hip_cuid_76b877d12ddac992, 1

	.ident	"AMD clang version 19.0.0git (https://github.com/RadeonOpenCompute/llvm-project roc-6.4.0 25133 c7fe45cf4b819c5991fe208aaa96edf142730f1d)"
	.section	".note.GNU-stack","",@progbits
	.addrsig
	.addrsig_sym __hip_cuid_76b877d12ddac992
	.amdgpu_metadata
---
amdhsa.kernels:
  - .args:
      - .actual_access:  read_only
        .address_space:  global
        .offset:         0
        .size:           8
        .value_kind:     global_buffer
      - .offset:         8
        .size:           8
        .value_kind:     by_value
      - .actual_access:  read_only
        .address_space:  global
        .offset:         16
        .size:           8
        .value_kind:     global_buffer
      - .actual_access:  read_only
        .address_space:  global
        .offset:         24
        .size:           8
        .value_kind:     global_buffer
      - .offset:         32
        .size:           8
        .value_kind:     by_value
      - .actual_access:  read_only
        .address_space:  global
        .offset:         40
        .size:           8
        .value_kind:     global_buffer
      - .actual_access:  read_only
        .address_space:  global
        .offset:         48
        .size:           8
        .value_kind:     global_buffer
      - .offset:         56
        .size:           4
        .value_kind:     by_value
      - .actual_access:  read_only
        .address_space:  global
        .offset:         64
        .size:           8
        .value_kind:     global_buffer
      - .actual_access:  read_only
        .address_space:  global
        .offset:         72
        .size:           8
        .value_kind:     global_buffer
      - .address_space:  global
        .offset:         80
        .size:           8
        .value_kind:     global_buffer
    .group_segment_fixed_size: 0
    .kernarg_segment_align: 8
    .kernarg_segment_size: 88
    .language:       OpenCL C
    .language_version:
      - 2
      - 0
    .max_flat_workgroup_size: 119
    .name:           fft_rtc_back_len170_factors_17_10_wgs_119_tpt_17_halfLds_sp_ip_CI_unitstride_sbrr_dirReg
    .private_segment_fixed_size: 0
    .sgpr_count:     23
    .sgpr_spill_count: 0
    .symbol:         fft_rtc_back_len170_factors_17_10_wgs_119_tpt_17_halfLds_sp_ip_CI_unitstride_sbrr_dirReg.kd
    .uniform_work_group_size: 1
    .uses_dynamic_stack: false
    .vgpr_count:     77
    .vgpr_spill_count: 0
    .wavefront_size: 32
    .workgroup_processor_mode: 1
amdhsa.target:   amdgcn-amd-amdhsa--gfx1030
amdhsa.version:
  - 1
  - 2
...

	.end_amdgpu_metadata
